;; amdgpu-corpus repo=ROCm/rocFFT kind=compiled arch=gfx1201 opt=O3
	.text
	.amdgcn_target "amdgcn-amd-amdhsa--gfx1201"
	.amdhsa_code_object_version 6
	.protected	fft_rtc_fwd_len72_factors_8_3_3_wgs_63_tpt_9_halfLds_sp_op_CI_CI_unitstride_sbrr_C2R_dirReg ; -- Begin function fft_rtc_fwd_len72_factors_8_3_3_wgs_63_tpt_9_halfLds_sp_op_CI_CI_unitstride_sbrr_C2R_dirReg
	.globl	fft_rtc_fwd_len72_factors_8_3_3_wgs_63_tpt_9_halfLds_sp_op_CI_CI_unitstride_sbrr_C2R_dirReg
	.p2align	8
	.type	fft_rtc_fwd_len72_factors_8_3_3_wgs_63_tpt_9_halfLds_sp_op_CI_CI_unitstride_sbrr_C2R_dirReg,@function
fft_rtc_fwd_len72_factors_8_3_3_wgs_63_tpt_9_halfLds_sp_op_CI_CI_unitstride_sbrr_C2R_dirReg: ; @fft_rtc_fwd_len72_factors_8_3_3_wgs_63_tpt_9_halfLds_sp_op_CI_CI_unitstride_sbrr_C2R_dirReg
; %bb.0:
	s_load_b128 s[8:11], s[0:1], 0x0
	v_mul_u32_u24_e32 v1, 0x1c72, v0
	s_clause 0x1
	s_load_b128 s[4:7], s[0:1], 0x58
	s_load_b128 s[12:15], s[0:1], 0x18
	v_mov_b32_e32 v5, 0
	v_lshrrev_b32_e32 v3, 16, v1
	v_mov_b32_e32 v1, 0
	v_mov_b32_e32 v2, 0
	s_delay_alu instid0(VALU_DEP_3) | instskip(NEXT) | instid1(VALU_DEP_2)
	v_mad_co_u64_u32 v[3:4], null, ttmp9, 7, v[3:4]
	v_dual_mov_b32 v4, v5 :: v_dual_mov_b32 v15, v2
	s_delay_alu instid0(VALU_DEP_1) | instskip(NEXT) | instid1(VALU_DEP_3)
	v_dual_mov_b32 v14, v1 :: v_dual_mov_b32 v17, v4
	v_mov_b32_e32 v16, v3
	s_wait_kmcnt 0x0
	v_cmp_lt_u64_e64 s2, s[10:11], 2
	s_delay_alu instid0(VALU_DEP_1)
	s_and_b32 vcc_lo, exec_lo, s2
	s_cbranch_vccnz .LBB0_8
; %bb.1:
	s_load_b64 s[2:3], s[0:1], 0x10
	v_dual_mov_b32 v1, 0 :: v_dual_mov_b32 v8, v4
	v_dual_mov_b32 v2, 0 :: v_dual_mov_b32 v7, v3
	s_add_nc_u64 s[16:17], s[14:15], 8
	s_add_nc_u64 s[18:19], s[12:13], 8
	s_mov_b64 s[20:21], 1
	s_delay_alu instid0(VALU_DEP_1)
	v_dual_mov_b32 v15, v2 :: v_dual_mov_b32 v14, v1
	s_wait_kmcnt 0x0
	s_add_nc_u64 s[22:23], s[2:3], 8
	s_mov_b32 s3, 0
.LBB0_2:                                ; =>This Inner Loop Header: Depth=1
	s_load_b64 s[24:25], s[22:23], 0x0
                                        ; implicit-def: $vgpr16_vgpr17
	s_mov_b32 s2, exec_lo
	s_wait_kmcnt 0x0
	v_or_b32_e32 v6, s25, v8
	s_delay_alu instid0(VALU_DEP_1)
	v_cmpx_ne_u64_e32 0, v[5:6]
	s_wait_alu 0xfffe
	s_xor_b32 s26, exec_lo, s2
	s_cbranch_execz .LBB0_4
; %bb.3:                                ;   in Loop: Header=BB0_2 Depth=1
	s_cvt_f32_u32 s2, s24
	s_cvt_f32_u32 s27, s25
	s_sub_nc_u64 s[30:31], 0, s[24:25]
	s_wait_alu 0xfffe
	s_delay_alu instid0(SALU_CYCLE_1) | instskip(SKIP_1) | instid1(SALU_CYCLE_2)
	s_fmamk_f32 s2, s27, 0x4f800000, s2
	s_wait_alu 0xfffe
	v_s_rcp_f32 s2, s2
	s_delay_alu instid0(TRANS32_DEP_1) | instskip(SKIP_1) | instid1(SALU_CYCLE_2)
	s_mul_f32 s2, s2, 0x5f7ffffc
	s_wait_alu 0xfffe
	s_mul_f32 s27, s2, 0x2f800000
	s_wait_alu 0xfffe
	s_delay_alu instid0(SALU_CYCLE_2) | instskip(SKIP_1) | instid1(SALU_CYCLE_2)
	s_trunc_f32 s27, s27
	s_wait_alu 0xfffe
	s_fmamk_f32 s2, s27, 0xcf800000, s2
	s_cvt_u32_f32 s29, s27
	s_wait_alu 0xfffe
	s_delay_alu instid0(SALU_CYCLE_1) | instskip(SKIP_1) | instid1(SALU_CYCLE_2)
	s_cvt_u32_f32 s28, s2
	s_wait_alu 0xfffe
	s_mul_u64 s[34:35], s[30:31], s[28:29]
	s_wait_alu 0xfffe
	s_mul_hi_u32 s37, s28, s35
	s_mul_i32 s36, s28, s35
	s_mul_hi_u32 s2, s28, s34
	s_mul_i32 s33, s29, s34
	s_wait_alu 0xfffe
	s_add_nc_u64 s[36:37], s[2:3], s[36:37]
	s_mul_hi_u32 s27, s29, s34
	s_mul_hi_u32 s38, s29, s35
	s_add_co_u32 s2, s36, s33
	s_wait_alu 0xfffe
	s_add_co_ci_u32 s2, s37, s27
	s_mul_i32 s34, s29, s35
	s_add_co_ci_u32 s35, s38, 0
	s_wait_alu 0xfffe
	s_add_nc_u64 s[34:35], s[2:3], s[34:35]
	s_wait_alu 0xfffe
	v_add_co_u32 v4, s2, s28, s34
	s_delay_alu instid0(VALU_DEP_1) | instskip(SKIP_1) | instid1(VALU_DEP_1)
	s_cmp_lg_u32 s2, 0
	s_add_co_ci_u32 s29, s29, s35
	v_readfirstlane_b32 s28, v4
	s_wait_alu 0xfffe
	s_delay_alu instid0(VALU_DEP_1)
	s_mul_u64 s[30:31], s[30:31], s[28:29]
	s_wait_alu 0xfffe
	s_mul_hi_u32 s35, s28, s31
	s_mul_i32 s34, s28, s31
	s_mul_hi_u32 s2, s28, s30
	s_mul_i32 s33, s29, s30
	s_wait_alu 0xfffe
	s_add_nc_u64 s[34:35], s[2:3], s[34:35]
	s_mul_hi_u32 s27, s29, s30
	s_mul_hi_u32 s28, s29, s31
	s_wait_alu 0xfffe
	s_add_co_u32 s2, s34, s33
	s_add_co_ci_u32 s2, s35, s27
	s_mul_i32 s30, s29, s31
	s_add_co_ci_u32 s31, s28, 0
	s_wait_alu 0xfffe
	s_add_nc_u64 s[30:31], s[2:3], s[30:31]
	s_wait_alu 0xfffe
	v_add_co_u32 v4, s2, v4, s30
	s_delay_alu instid0(VALU_DEP_1) | instskip(SKIP_1) | instid1(VALU_DEP_1)
	s_cmp_lg_u32 s2, 0
	s_add_co_ci_u32 s2, s29, s31
	v_mul_hi_u32 v6, v7, v4
	s_wait_alu 0xfffe
	v_mad_co_u64_u32 v[9:10], null, v7, s2, 0
	v_mad_co_u64_u32 v[11:12], null, v8, v4, 0
	;; [unrolled: 1-line block ×3, first 2 shown]
	s_delay_alu instid0(VALU_DEP_3) | instskip(SKIP_1) | instid1(VALU_DEP_4)
	v_add_co_u32 v4, vcc_lo, v6, v9
	s_wait_alu 0xfffd
	v_add_co_ci_u32_e32 v6, vcc_lo, 0, v10, vcc_lo
	s_delay_alu instid0(VALU_DEP_2) | instskip(SKIP_1) | instid1(VALU_DEP_2)
	v_add_co_u32 v4, vcc_lo, v4, v11
	s_wait_alu 0xfffd
	v_add_co_ci_u32_e32 v4, vcc_lo, v6, v12, vcc_lo
	s_wait_alu 0xfffd
	v_add_co_ci_u32_e32 v6, vcc_lo, 0, v17, vcc_lo
	s_delay_alu instid0(VALU_DEP_2) | instskip(SKIP_1) | instid1(VALU_DEP_2)
	v_add_co_u32 v4, vcc_lo, v4, v16
	s_wait_alu 0xfffd
	v_add_co_ci_u32_e32 v6, vcc_lo, 0, v6, vcc_lo
	s_delay_alu instid0(VALU_DEP_2) | instskip(SKIP_1) | instid1(VALU_DEP_3)
	v_mul_lo_u32 v11, s25, v4
	v_mad_co_u64_u32 v[9:10], null, s24, v4, 0
	v_mul_lo_u32 v12, s24, v6
	s_delay_alu instid0(VALU_DEP_2) | instskip(NEXT) | instid1(VALU_DEP_2)
	v_sub_co_u32 v9, vcc_lo, v7, v9
	v_add3_u32 v10, v10, v12, v11
	s_delay_alu instid0(VALU_DEP_1) | instskip(SKIP_1) | instid1(VALU_DEP_1)
	v_sub_nc_u32_e32 v11, v8, v10
	s_wait_alu 0xfffd
	v_subrev_co_ci_u32_e64 v11, s2, s25, v11, vcc_lo
	v_add_co_u32 v12, s2, v4, 2
	s_wait_alu 0xf1ff
	v_add_co_ci_u32_e64 v13, s2, 0, v6, s2
	v_sub_co_u32 v16, s2, v9, s24
	v_sub_co_ci_u32_e32 v10, vcc_lo, v8, v10, vcc_lo
	s_wait_alu 0xf1ff
	v_subrev_co_ci_u32_e64 v11, s2, 0, v11, s2
	s_delay_alu instid0(VALU_DEP_3) | instskip(NEXT) | instid1(VALU_DEP_3)
	v_cmp_le_u32_e32 vcc_lo, s24, v16
	v_cmp_eq_u32_e64 s2, s25, v10
	s_wait_alu 0xfffd
	v_cndmask_b32_e64 v16, 0, -1, vcc_lo
	v_cmp_le_u32_e32 vcc_lo, s25, v11
	s_wait_alu 0xfffd
	v_cndmask_b32_e64 v17, 0, -1, vcc_lo
	v_cmp_le_u32_e32 vcc_lo, s24, v9
	;; [unrolled: 3-line block ×3, first 2 shown]
	s_wait_alu 0xfffd
	v_cndmask_b32_e64 v18, 0, -1, vcc_lo
	v_cmp_eq_u32_e32 vcc_lo, s25, v11
	s_wait_alu 0xf1ff
	s_delay_alu instid0(VALU_DEP_2)
	v_cndmask_b32_e64 v9, v18, v9, s2
	s_wait_alu 0xfffd
	v_cndmask_b32_e32 v11, v17, v16, vcc_lo
	v_add_co_u32 v16, vcc_lo, v4, 1
	s_wait_alu 0xfffd
	v_add_co_ci_u32_e32 v17, vcc_lo, 0, v6, vcc_lo
	s_delay_alu instid0(VALU_DEP_3) | instskip(SKIP_1) | instid1(VALU_DEP_2)
	v_cmp_ne_u32_e32 vcc_lo, 0, v11
	s_wait_alu 0xfffd
	v_dual_cndmask_b32 v10, v17, v13 :: v_dual_cndmask_b32 v11, v16, v12
	v_cmp_ne_u32_e32 vcc_lo, 0, v9
	s_wait_alu 0xfffd
	s_delay_alu instid0(VALU_DEP_2)
	v_dual_cndmask_b32 v17, v6, v10 :: v_dual_cndmask_b32 v16, v4, v11
.LBB0_4:                                ;   in Loop: Header=BB0_2 Depth=1
	s_wait_alu 0xfffe
	s_and_not1_saveexec_b32 s2, s26
	s_cbranch_execz .LBB0_6
; %bb.5:                                ;   in Loop: Header=BB0_2 Depth=1
	v_cvt_f32_u32_e32 v4, s24
	s_sub_co_i32 s26, 0, s24
	v_mov_b32_e32 v17, v5
	s_delay_alu instid0(VALU_DEP_2) | instskip(NEXT) | instid1(TRANS32_DEP_1)
	v_rcp_iflag_f32_e32 v4, v4
	v_mul_f32_e32 v4, 0x4f7ffffe, v4
	s_delay_alu instid0(VALU_DEP_1) | instskip(SKIP_1) | instid1(VALU_DEP_1)
	v_cvt_u32_f32_e32 v4, v4
	s_wait_alu 0xfffe
	v_mul_lo_u32 v6, s26, v4
	s_delay_alu instid0(VALU_DEP_1) | instskip(NEXT) | instid1(VALU_DEP_1)
	v_mul_hi_u32 v6, v4, v6
	v_add_nc_u32_e32 v4, v4, v6
	s_delay_alu instid0(VALU_DEP_1) | instskip(NEXT) | instid1(VALU_DEP_1)
	v_mul_hi_u32 v4, v7, v4
	v_mul_lo_u32 v6, v4, s24
	s_delay_alu instid0(VALU_DEP_1) | instskip(NEXT) | instid1(VALU_DEP_1)
	v_sub_nc_u32_e32 v6, v7, v6
	v_subrev_nc_u32_e32 v10, s24, v6
	v_cmp_le_u32_e32 vcc_lo, s24, v6
	s_wait_alu 0xfffd
	s_delay_alu instid0(VALU_DEP_2) | instskip(NEXT) | instid1(VALU_DEP_1)
	v_dual_cndmask_b32 v6, v6, v10 :: v_dual_add_nc_u32 v9, 1, v4
	v_cndmask_b32_e32 v4, v4, v9, vcc_lo
	s_delay_alu instid0(VALU_DEP_2) | instskip(NEXT) | instid1(VALU_DEP_2)
	v_cmp_le_u32_e32 vcc_lo, s24, v6
	v_add_nc_u32_e32 v9, 1, v4
	s_wait_alu 0xfffd
	s_delay_alu instid0(VALU_DEP_1)
	v_cndmask_b32_e32 v16, v4, v9, vcc_lo
.LBB0_6:                                ;   in Loop: Header=BB0_2 Depth=1
	s_wait_alu 0xfffe
	s_or_b32 exec_lo, exec_lo, s2
	v_mul_lo_u32 v4, v17, s24
	s_delay_alu instid0(VALU_DEP_2)
	v_mul_lo_u32 v6, v16, s25
	s_load_b64 s[26:27], s[18:19], 0x0
	v_mad_co_u64_u32 v[9:10], null, v16, s24, 0
	s_load_b64 s[24:25], s[16:17], 0x0
	s_add_nc_u64 s[20:21], s[20:21], 1
	s_add_nc_u64 s[16:17], s[16:17], 8
	s_wait_alu 0xfffe
	v_cmp_ge_u64_e64 s2, s[20:21], s[10:11]
	s_add_nc_u64 s[18:19], s[18:19], 8
	s_add_nc_u64 s[22:23], s[22:23], 8
	v_add3_u32 v4, v10, v6, v4
	v_sub_co_u32 v6, vcc_lo, v7, v9
	s_wait_alu 0xfffd
	s_delay_alu instid0(VALU_DEP_2) | instskip(SKIP_2) | instid1(VALU_DEP_1)
	v_sub_co_ci_u32_e32 v4, vcc_lo, v8, v4, vcc_lo
	s_and_b32 vcc_lo, exec_lo, s2
	s_wait_kmcnt 0x0
	v_mul_lo_u32 v7, s26, v4
	v_mul_lo_u32 v8, s27, v6
	v_mad_co_u64_u32 v[1:2], null, s26, v6, v[1:2]
	v_mul_lo_u32 v4, s24, v4
	v_mul_lo_u32 v9, s25, v6
	v_mad_co_u64_u32 v[14:15], null, s24, v6, v[14:15]
	s_delay_alu instid0(VALU_DEP_4) | instskip(NEXT) | instid1(VALU_DEP_2)
	v_add3_u32 v2, v8, v2, v7
	v_add3_u32 v15, v9, v15, v4
	s_wait_alu 0xfffe
	s_cbranch_vccnz .LBB0_8
; %bb.7:                                ;   in Loop: Header=BB0_2 Depth=1
	v_dual_mov_b32 v7, v16 :: v_dual_mov_b32 v8, v17
	s_branch .LBB0_2
.LBB0_8:
	v_mul_hi_u32 v4, 0x24924925, v3
	s_load_b64 s[0:1], s[0:1], 0x28
	s_lshl_b64 s[10:11], s[10:11], 3
                                        ; implicit-def: $vgpr18
	s_wait_alu 0xfffe
	s_add_nc_u64 s[2:3], s[14:15], s[10:11]
	s_delay_alu instid0(VALU_DEP_1) | instskip(NEXT) | instid1(VALU_DEP_1)
	v_sub_nc_u32_e32 v5, v3, v4
	v_lshrrev_b32_e32 v5, 1, v5
	s_delay_alu instid0(VALU_DEP_1) | instskip(SKIP_3) | instid1(VALU_DEP_3)
	v_add_nc_u32_e32 v4, v5, v4
	s_wait_kmcnt 0x0
	v_cmp_gt_u64_e32 vcc_lo, s[0:1], v[16:17]
	v_cmp_le_u64_e64 s0, s[0:1], v[16:17]
	v_lshrrev_b32_e32 v4, 2, v4
	s_delay_alu instid0(VALU_DEP_1) | instskip(SKIP_1) | instid1(VALU_DEP_2)
	v_mul_lo_u32 v5, v4, 7
	v_mul_hi_u32 v4, 0x1c71c71d, v0
	v_sub_nc_u32_e32 v3, v3, v5
	s_and_saveexec_b32 s1, s0
	s_wait_alu 0xfffe
	s_xor_b32 s0, exec_lo, s1
; %bb.9:
	s_delay_alu instid0(VALU_DEP_2) | instskip(NEXT) | instid1(VALU_DEP_1)
	v_mul_u32_u24_e32 v1, 9, v4
                                        ; implicit-def: $vgpr4
	v_sub_nc_u32_e32 v18, v0, v1
                                        ; implicit-def: $vgpr0
                                        ; implicit-def: $vgpr1_vgpr2
; %bb.10:
	s_wait_alu 0xfffe
	s_or_saveexec_b32 s1, s0
	s_load_b64 s[2:3], s[2:3], 0x0
	v_mul_u32_u24_e32 v3, 0x49, v3
	s_delay_alu instid0(VALU_DEP_1)
	v_lshlrev_b32_e32 v26, 3, v3
	s_xor_b32 exec_lo, exec_lo, s1
	s_cbranch_execz .LBB0_14
; %bb.11:
	s_add_nc_u64 s[10:11], s[12:13], s[10:11]
	v_lshlrev_b64_e32 v[1:2], 3, v[1:2]
	s_load_b64 s[10:11], s[10:11], 0x0
	s_wait_kmcnt 0x0
	v_mul_lo_u32 v7, s11, v16
	v_mul_lo_u32 v8, s10, v17
	v_mad_co_u64_u32 v[5:6], null, s10, v16, 0
	s_delay_alu instid0(VALU_DEP_1) | instskip(SKIP_1) | instid1(VALU_DEP_2)
	v_add3_u32 v6, v6, v8, v7
	v_mul_u32_u24_e32 v7, 9, v4
	v_lshlrev_b64_e32 v[4:5], 3, v[5:6]
	s_delay_alu instid0(VALU_DEP_2) | instskip(NEXT) | instid1(VALU_DEP_1)
	v_sub_nc_u32_e32 v18, v0, v7
	v_lshlrev_b32_e32 v25, 3, v18
	s_delay_alu instid0(VALU_DEP_3) | instskip(SKIP_1) | instid1(VALU_DEP_4)
	v_add_co_u32 v0, s0, s4, v4
	s_wait_alu 0xf1ff
	v_add_co_ci_u32_e64 v4, s0, s5, v5, s0
	s_mov_b32 s4, exec_lo
	s_delay_alu instid0(VALU_DEP_2) | instskip(SKIP_1) | instid1(VALU_DEP_2)
	v_add_co_u32 v0, s0, v0, v1
	s_wait_alu 0xf1ff
	v_add_co_ci_u32_e64 v1, s0, v4, v2, s0
	v_add3_u32 v2, 0, v26, v25
	s_delay_alu instid0(VALU_DEP_3) | instskip(SKIP_1) | instid1(VALU_DEP_3)
	v_add_co_u32 v4, s0, v0, v25
	s_wait_alu 0xf1ff
	v_add_co_ci_u32_e64 v5, s0, 0, v1, s0
	s_clause 0x7
	global_load_b64 v[6:7], v[4:5], off
	global_load_b64 v[8:9], v[4:5], off offset:72
	global_load_b64 v[10:11], v[4:5], off offset:144
	;; [unrolled: 1-line block ×7, first 2 shown]
	s_wait_loadcnt 0x6
	ds_store_2addr_b64 v2, v[6:7], v[8:9] offset1:9
	s_wait_loadcnt 0x4
	ds_store_2addr_b64 v2, v[10:11], v[12:13] offset0:18 offset1:27
	s_wait_loadcnt 0x2
	ds_store_2addr_b64 v2, v[19:20], v[21:22] offset0:36 offset1:45
	;; [unrolled: 2-line block ×3, first 2 shown]
	v_cmpx_eq_u32_e32 8, v18
	s_cbranch_execz .LBB0_13
; %bb.12:
	global_load_b64 v[0:1], v[0:1], off offset:576
	v_mov_b32_e32 v18, 8
	s_wait_loadcnt 0x0
	ds_store_b64 v2, v[0:1] offset:512
.LBB0_13:
	s_wait_alu 0xfffe
	s_or_b32 exec_lo, exec_lo, s4
.LBB0_14:
	s_delay_alu instid0(SALU_CYCLE_1)
	s_or_b32 exec_lo, exec_lo, s1
	v_lshl_add_u32 v25, v3, 3, 0
	v_lshlrev_b32_e32 v0, 3, v18
	global_wb scope:SCOPE_SE
	s_wait_dscnt 0x0
	s_wait_kmcnt 0x0
	s_barrier_signal -1
	s_barrier_wait -1
	global_inv scope:SCOPE_SE
	v_add_nc_u32_e32 v23, v25, v0
	v_sub_nc_u32_e32 v4, v25, v0
	s_mov_b32 s1, exec_lo
	ds_load_b32 v1, v23
	ds_load_b32 v2, v4 offset:576
	s_wait_dscnt 0x0
	v_dual_add_f32 v0, v2, v1 :: v_dual_sub_f32 v1, v1, v2
                                        ; implicit-def: $vgpr2_vgpr3
	v_cmpx_ne_u32_e32 0, v18
	s_wait_alu 0xfffe
	s_xor_b32 s1, exec_lo, s1
	s_cbranch_execz .LBB0_16
; %bb.15:
	v_mov_b32_e32 v19, 0
	s_delay_alu instid0(VALU_DEP_1) | instskip(NEXT) | instid1(VALU_DEP_1)
	v_lshlrev_b64_e32 v[2:3], 3, v[18:19]
	v_add_co_u32 v2, s0, s8, v2
	s_wait_alu 0xf1ff
	s_delay_alu instid0(VALU_DEP_2)
	v_add_co_ci_u32_e64 v3, s0, s9, v3, s0
	global_load_b64 v[2:3], v[2:3], off offset:512
	ds_load_b32 v5, v4 offset:580
	ds_load_b32 v6, v23 offset:4
	s_wait_dscnt 0x0
	v_add_f32_e32 v9, v5, v6
	v_sub_f32_e32 v5, v6, v5
	s_wait_loadcnt 0x0
	s_delay_alu instid0(VALU_DEP_1) | instskip(SKIP_2) | instid1(VALU_DEP_3)
	v_fma_f32 v8, v9, v3, -v5
	v_fma_f32 v10, v1, v3, v0
	v_fma_f32 v7, -v1, v3, v0
                                        ; implicit-def: $vgpr0
	v_fmac_f32_e32 v8, v1, v2
	v_fma_f32 v6, v9, v3, v5
	s_delay_alu instid0(VALU_DEP_4) | instskip(NEXT) | instid1(VALU_DEP_2)
	v_fma_f32 v5, -v2, v9, v10
	v_dual_fmac_f32 v7, v2, v9 :: v_dual_fmac_f32 v6, v1, v2
	v_dual_mov_b32 v2, v18 :: v_dual_mov_b32 v3, v19
	ds_store_b64 v23, v[5:6]
	ds_store_b64 v4, v[7:8] offset:576
.LBB0_16:
	s_wait_alu 0xfffe
	s_and_not1_saveexec_b32 s0, s1
	s_cbranch_execz .LBB0_18
; %bb.17:
	ds_store_b64 v23, v[0:1]
	ds_load_b64 v[0:1], v25 offset:288
	v_mov_b32_e32 v2, 0
	s_wait_dscnt 0x0
	v_dual_mov_b32 v3, 0 :: v_dual_add_f32 v0, v0, v0
	v_mul_f32_e32 v1, -2.0, v1
	ds_store_b64 v25, v[0:1] offset:288
.LBB0_18:
	s_wait_alu 0xfffe
	s_or_b32 exec_lo, exec_lo, s0
	v_lshlrev_b64_e32 v[0:1], 3, v[2:3]
	s_add_nc_u64 s[0:1], s[8:9], 0x200
	v_xor_b32_e32 v7, 63, v18
	v_lshl_add_u32 v21, v18, 3, 0
	s_wait_alu 0xfffe
	s_delay_alu instid0(VALU_DEP_3)
	v_add_co_u32 v0, s0, s0, v0
	s_wait_alu 0xf1ff
	v_add_co_ci_u32_e64 v1, s0, s1, v1, s0
	v_lshl_add_u32 v11, v7, 3, v25
	v_add_nc_u32_e32 v27, v21, v26
	v_mad_u32_u24 v28, v18, 56, v21
	s_clause 0x2
	global_load_b64 v[2:3], v[0:1], off offset:72
	global_load_b64 v[5:6], v[0:1], off offset:144
	;; [unrolled: 1-line block ×3, first 2 shown]
	ds_load_b64 v[7:8], v23 offset:72
	ds_load_b64 v[9:10], v11
	v_cmp_gt_u32_e64 s0, 6, v18
	s_wait_dscnt 0x0
	v_dual_add_f32 v12, v7, v9 :: v_dual_add_f32 v13, v10, v8
	v_sub_f32_e32 v19, v7, v9
	v_sub_f32_e32 v7, v8, v10
	s_wait_loadcnt 0x2
	s_delay_alu instid0(VALU_DEP_2) | instskip(NEXT) | instid1(VALU_DEP_2)
	v_fma_f32 v20, v19, v3, v12
	v_fma_f32 v8, v13, v3, v7
	v_fma_f32 v9, -v19, v3, v12
	v_fma_f32 v10, v13, v3, -v7
	s_delay_alu instid0(VALU_DEP_4) | instskip(NEXT) | instid1(VALU_DEP_3)
	v_fma_f32 v7, -v2, v13, v20
	v_dual_fmac_f32 v8, v19, v2 :: v_dual_fmac_f32 v9, v2, v13
	s_delay_alu instid0(VALU_DEP_3)
	v_fmac_f32_e32 v10, v19, v2
	ds_store_b64 v23, v[7:8] offset:72
	ds_store_b64 v11, v[9:10]
	ds_load_b64 v[2:3], v23 offset:144
	ds_load_b64 v[7:8], v4 offset:432
	s_wait_dscnt 0x0
	v_add_f32_e32 v9, v2, v7
	v_add_f32_e32 v10, v8, v3
	v_dual_sub_f32 v11, v2, v7 :: v_dual_sub_f32 v2, v3, v8
	s_wait_loadcnt 0x1
	s_delay_alu instid0(VALU_DEP_1) | instskip(NEXT) | instid1(VALU_DEP_2)
	v_fma_f32 v12, v11, v6, v9
	v_fma_f32 v3, v10, v6, v2
	v_fma_f32 v7, -v11, v6, v9
	v_fma_f32 v8, v10, v6, -v2
	s_delay_alu instid0(VALU_DEP_4) | instskip(NEXT) | instid1(VALU_DEP_4)
	v_fma_f32 v2, -v5, v10, v12
	v_fmac_f32_e32 v3, v11, v5
	s_delay_alu instid0(VALU_DEP_3)
	v_dual_fmac_f32 v7, v5, v10 :: v_dual_fmac_f32 v8, v11, v5
	ds_store_b64 v23, v[2:3] offset:144
	ds_store_b64 v4, v[7:8] offset:432
	ds_load_b64 v[2:3], v23 offset:216
	ds_load_b64 v[5:6], v4 offset:360
	s_wait_dscnt 0x0
	v_add_f32_e32 v7, v2, v5
	v_dual_add_f32 v8, v6, v3 :: v_dual_sub_f32 v3, v3, v6
	v_sub_f32_e32 v9, v2, v5
	s_wait_loadcnt 0x0
	s_delay_alu instid0(VALU_DEP_2) | instskip(NEXT) | instid1(VALU_DEP_2)
	v_fma_f32 v2, v8, v1, v3
	v_fma_f32 v10, v9, v1, v7
	v_fma_f32 v5, -v9, v1, v7
	v_fma_f32 v6, v8, v1, -v3
	s_delay_alu instid0(VALU_DEP_4) | instskip(NEXT) | instid1(VALU_DEP_4)
	v_fmac_f32_e32 v2, v9, v0
	v_fma_f32 v1, -v0, v8, v10
	s_delay_alu instid0(VALU_DEP_4) | instskip(NEXT) | instid1(VALU_DEP_4)
	v_fmac_f32_e32 v5, v0, v8
	v_fmac_f32_e32 v6, v9, v0
	ds_store_b64 v23, v[1:2] offset:216
	ds_store_b64 v4, v[5:6] offset:360
	global_wb scope:SCOPE_SE
	s_wait_dscnt 0x0
	s_barrier_signal -1
	s_barrier_wait -1
	global_inv scope:SCOPE_SE
	global_wb scope:SCOPE_SE
	s_barrier_signal -1
	s_barrier_wait -1
	global_inv scope:SCOPE_SE
	ds_load_2addr_b64 v[0:3], v27 offset0:27 offset1:36
	ds_load_b64 v[12:13], v23
	ds_load_2addr_b64 v[4:7], v27 offset0:9 offset1:18
	ds_load_2addr_b64 v[8:11], v27 offset0:45 offset1:54
	ds_load_b64 v[19:20], v27 offset:504
	v_add_nc_u32_e32 v21, v28, v26
	global_wb scope:SCOPE_SE
	s_wait_dscnt 0x0
	s_barrier_signal -1
	s_barrier_wait -1
	global_inv scope:SCOPE_SE
	v_sub_f32_e32 v2, v12, v2
	v_sub_f32_e32 v10, v6, v10
	;; [unrolled: 1-line block ×4, first 2 shown]
	s_delay_alu instid0(VALU_DEP_4) | instskip(NEXT) | instid1(VALU_DEP_4)
	v_fma_f32 v12, v12, 2.0, -v2
	v_fma_f32 v6, v6, 2.0, -v10
	v_sub_f32_e32 v3, v13, v3
	v_sub_f32_e32 v9, v5, v9
	v_fma_f32 v1, v1, 2.0, -v20
	v_fma_f32 v4, v4, 2.0, -v8
	s_delay_alu instid0(VALU_DEP_4) | instskip(NEXT) | instid1(VALU_DEP_4)
	v_add_f32_e32 v22, v3, v10
	v_fma_f32 v5, v5, 2.0, -v9
	v_sub_f32_e32 v19, v0, v19
	v_sub_f32_e32 v10, v8, v20
	;; [unrolled: 1-line block ×3, first 2 shown]
	v_fma_f32 v13, v13, 2.0, -v3
	v_fma_f32 v30, v3, 2.0, -v22
	;; [unrolled: 1-line block ×3, first 2 shown]
	v_sub_f32_e32 v11, v7, v11
	v_fma_f32 v8, v8, 2.0, -v10
	v_fma_f32 v12, v12, 2.0, -v20
	s_delay_alu instid0(VALU_DEP_4) | instskip(NEXT) | instid1(VALU_DEP_4)
	v_sub_f32_e32 v6, v4, v0
	v_fma_f32 v7, v7, 2.0, -v11
	v_dual_sub_f32 v11, v2, v11 :: v_dual_sub_f32 v0, v5, v1
	s_delay_alu instid0(VALU_DEP_2) | instskip(NEXT) | instid1(VALU_DEP_2)
	v_sub_f32_e32 v24, v13, v7
	v_fma_f32 v29, v2, 2.0, -v11
	v_fma_f32 v7, v4, 2.0, -v6
	s_delay_alu instid0(VALU_DEP_4) | instskip(SKIP_1) | instid1(VALU_DEP_4)
	v_fma_f32 v31, v5, 2.0, -v0
	v_sub_f32_e32 v0, v20, v0
	v_dual_fmamk_f32 v4, v8, 0xbf3504f3, v29 :: v_dual_add_f32 v19, v9, v19
	v_fmamk_f32 v2, v10, 0x3f3504f3, v11
	s_delay_alu instid0(VALU_DEP_2) | instskip(SKIP_2) | instid1(VALU_DEP_4)
	v_fma_f32 v9, v9, 2.0, -v19
	v_fmamk_f32 v3, v19, 0x3f3504f3, v22
	v_fma_f32 v13, v13, 2.0, -v24
	v_dual_add_f32 v1, v24, v6 :: v_dual_fmac_f32 v2, 0xbf3504f3, v19
	s_delay_alu instid0(VALU_DEP_4) | instskip(NEXT) | instid1(VALU_DEP_4)
	v_fmamk_f32 v5, v9, 0xbf3504f3, v30
	v_dual_fmac_f32 v3, 0x3f3504f3, v10 :: v_dual_sub_f32 v6, v12, v7
	s_delay_alu instid0(VALU_DEP_4) | instskip(NEXT) | instid1(VALU_DEP_3)
	v_dual_sub_f32 v7, v13, v31 :: v_dual_fmac_f32 v4, 0xbf3504f3, v9
	v_fmac_f32_e32 v5, 0x3f3504f3, v8
	v_fma_f32 v8, v20, 2.0, -v0
	s_delay_alu instid0(VALU_DEP_4) | instskip(NEXT) | instid1(VALU_DEP_4)
	v_fma_f32 v12, v12, 2.0, -v6
	v_fma_f32 v13, v13, 2.0, -v7
	;; [unrolled: 1-line block ×7, first 2 shown]
	ds_store_2addr_b64 v21, v[6:7], v[4:5] offset0:4 offset1:5
	ds_store_2addr_b64 v21, v[0:1], v[2:3] offset0:6 offset1:7
	ds_store_2addr_b64 v21, v[12:13], v[19:20] offset1:1
	ds_store_2addr_b64 v21, v[8:9], v[10:11] offset0:2 offset1:3
	global_wb scope:SCOPE_SE
	s_wait_dscnt 0x0
	s_barrier_signal -1
	s_barrier_wait -1
	global_inv scope:SCOPE_SE
	ds_load_2addr_b64 v[6:9], v27 offset0:9 offset1:24
	ds_load_b64 v[19:20], v23
	ds_load_b64 v[4:5], v27 offset:456
	s_wait_dscnt 0x1
	ds_load_b32 v20, v23 offset:4
	ds_load_2addr_b64 v[10:13], v27 offset0:33 offset1:48
                                        ; implicit-def: $vgpr22
	s_and_saveexec_b32 s1, s0
	s_cbranch_execz .LBB0_20
; %bb.19:
	ds_load_2addr_b64 v[0:3], v27 offset0:18 offset1:42
	ds_load_b64 v[21:22], v27 offset:528
.LBB0_20:
	s_wait_alu 0xfffe
	s_or_b32 exec_lo, exec_lo, s1
	v_and_b32_e32 v43, 7, v18
	v_lshrrev_b32_e32 v45, 3, v18
	s_delay_alu instid0(VALU_DEP_2) | instskip(NEXT) | instid1(VALU_DEP_2)
	v_lshlrev_b32_e32 v24, 4, v43
	v_mul_u32_u24_e32 v45, 24, v45
	global_load_b128 v[31:34], v24, s[8:9]
	v_add_nc_u32_e32 v30, 9, v18
	v_add_nc_u32_e32 v29, 18, v18
	v_or_b32_e32 v43, v45, v43
	s_delay_alu instid0(VALU_DEP_3) | instskip(SKIP_1) | instid1(VALU_DEP_3)
	v_lshrrev_b32_e32 v46, 3, v30
	v_and_b32_e32 v44, 7, v30
	v_lshlrev_b32_e32 v43, 3, v43
	s_delay_alu instid0(VALU_DEP_3) | instskip(NEXT) | instid1(VALU_DEP_3)
	v_mul_u32_u24_e32 v45, 24, v46
	v_lshlrev_b32_e32 v35, 4, v44
	s_delay_alu instid0(VALU_DEP_2)
	v_or_b32_e32 v44, v45, v44
	s_wait_loadcnt_dscnt 0x0
	v_mul_f32_e32 v46, v34, v13
	v_and_b32_e32 v24, 7, v29
	v_mul_f32_e32 v45, v32, v9
	v_mul_f32_e32 v32, v32, v8
	;; [unrolled: 1-line block ×3, first 2 shown]
	v_add3_u32 v43, 0, v43, v26
	v_lshlrev_b32_e32 v39, 4, v24
	v_fma_f32 v8, v31, v8, -v45
	v_fmac_f32_e32 v32, v31, v9
	v_fmac_f32_e32 v34, v33, v13
	s_clause 0x1
	global_load_b128 v[35:38], v35, s[8:9]
	global_load_b128 v[39:42], v39, s[8:9]
	v_fma_f32 v9, v33, v12, -v46
	global_wb scope:SCOPE_SE
	s_wait_loadcnt 0x0
	s_barrier_signal -1
	s_barrier_wait -1
	global_inv scope:SCOPE_SE
	v_mul_f32_e32 v13, v36, v10
	v_mul_f32_e32 v31, v38, v5
	v_dual_mul_f32 v33, v38, v4 :: v_dual_mul_f32 v12, v36, v11
	v_mul_f32_e32 v36, v3, v40
	v_mul_f32_e32 v38, v2, v40
	;; [unrolled: 1-line block ×4, first 2 shown]
	v_dual_fmac_f32 v13, v35, v11 :: v_dual_lshlrev_b32 v44, 3, v44
	v_fma_f32 v4, v37, v4, -v31
	v_fmac_f32_e32 v33, v37, v5
	v_fma_f32 v10, v35, v10, -v12
	v_add_f32_e32 v5, v8, v19
	v_dual_add_f32 v11, v8, v9 :: v_dual_fmac_f32 v38, v3, v39
	v_fma_f32 v3, v21, v41, -v40
	v_add_f32_e32 v21, v20, v32
	v_sub_f32_e32 v31, v8, v9
	s_delay_alu instid0(VALU_DEP_4)
	v_dual_fmac_f32 v42, v22, v41 :: v_dual_fmac_f32 v19, -0.5, v11
	v_dual_add_f32 v22, v32, v34 :: v_dual_sub_f32 v35, v10, v4
	v_fma_f32 v2, v2, v39, -v36
	v_sub_f32_e32 v12, v32, v34
	v_dual_add_f32 v8, v5, v9 :: v_dual_add_f32 v5, v6, v10
	v_add_f32_e32 v9, v21, v34
	s_delay_alu instid0(VALU_DEP_4) | instskip(SKIP_3) | instid1(VALU_DEP_4)
	v_dual_fmac_f32 v20, -0.5, v22 :: v_dual_add_f32 v37, v2, v3
	v_dual_add_f32 v21, v10, v4 :: v_dual_add_f32 v34, v13, v33
	v_dual_sub_f32 v22, v13, v33 :: v_dual_sub_f32 v39, v38, v42
	v_dual_add_f32 v32, v7, v13 :: v_dual_sub_f32 v41, v2, v3
	v_dual_add_f32 v36, v0, v2 :: v_dual_fmamk_f32 v11, v31, 0xbf5db3d7, v20
	s_delay_alu instid0(VALU_DEP_2)
	v_dual_add_f32 v40, v1, v38 :: v_dual_add_f32 v13, v32, v33
	v_fma_f32 v6, -0.5, v21, v6
	v_fmamk_f32 v10, v12, 0x3f5db3d7, v19
	v_fmac_f32_e32 v19, 0xbf5db3d7, v12
	v_dual_fmac_f32 v20, 0x3f5db3d7, v31 :: v_dual_fmac_f32 v7, -0.5, v34
	v_add_f32_e32 v38, v38, v42
	v_fmamk_f32 v21, v22, 0x3f5db3d7, v6
	v_fmac_f32_e32 v6, 0xbf5db3d7, v22
	v_add_f32_e32 v12, v5, v4
	v_fmamk_f32 v22, v35, 0xbf5db3d7, v7
	v_fmac_f32_e32 v7, 0x3f5db3d7, v35
	v_dual_add_f32 v2, v36, v3 :: v_dual_fmac_f32 v1, -0.5, v38
	v_dual_fmac_f32 v0, -0.5, v37 :: v_dual_add_f32 v3, v40, v42
	v_add3_u32 v44, 0, v44, v26
	ds_store_2addr_b64 v43, v[8:9], v[10:11] offset1:8
	ds_store_b64 v43, v[19:20] offset:128
	ds_store_2addr_b64 v44, v[12:13], v[21:22] offset1:8
	ds_store_b64 v44, v[6:7] offset:128
	v_fmamk_f32 v5, v41, 0xbf5db3d7, v1
	v_dual_fmamk_f32 v4, v39, 0x3f5db3d7, v0 :: v_dual_fmac_f32 v1, 0x3f5db3d7, v41
	v_fmac_f32_e32 v0, 0xbf5db3d7, v39
	s_and_saveexec_b32 s1, s0
	s_cbranch_execz .LBB0_22
; %bb.21:
	v_lshlrev_b32_e32 v6, 3, v24
	v_lshl_or_b32 v7, v29, 3, 0x1c0
	s_delay_alu instid0(VALU_DEP_2) | instskip(NEXT) | instid1(VALU_DEP_2)
	v_add3_u32 v6, 0, v6, v26
	v_add3_u32 v7, 0, v7, v26
	ds_store_b64 v6, v[2:3] offset:384
	ds_store_b64 v7, v[4:5]
	ds_store_b64 v6, v[0:1] offset:512
.LBB0_22:
	s_wait_alu 0xfffe
	s_or_b32 exec_lo, exec_lo, s1
	global_wb scope:SCOPE_SE
	s_wait_dscnt 0x0
	s_barrier_signal -1
	s_barrier_wait -1
	global_inv scope:SCOPE_SE
	ds_load_2addr_b64 v[6:9], v27 offset0:9 offset1:24
	ds_load_2addr_b64 v[10:13], v27 offset0:33 offset1:48
	ds_load_b64 v[19:20], v23
	ds_load_b64 v[23:24], v27 offset:456
	s_and_saveexec_b32 s1, s0
	s_cbranch_execz .LBB0_24
; %bb.23:
	ds_load_2addr_b64 v[2:5], v27 offset0:18 offset1:42
	ds_load_b64 v[0:1], v27 offset:528
.LBB0_24:
	s_wait_alu 0xfffe
	s_or_b32 exec_lo, exec_lo, s1
	v_dual_mov_b32 v22, 0 :: v_dual_lshlrev_b32 v21, 1, v18
	s_delay_alu instid0(VALU_DEP_1) | instskip(SKIP_1) | instid1(VALU_DEP_1)
	v_lshlrev_b64_e32 v[31:32], 3, v[21:22]
	v_lshlrev_b32_e32 v21, 1, v30
	v_lshlrev_b64_e32 v[34:35], 3, v[21:22]
	s_delay_alu instid0(VALU_DEP_3) | instskip(SKIP_1) | instid1(VALU_DEP_4)
	v_add_co_u32 v30, s1, s8, v31
	s_wait_alu 0xf1ff
	v_add_co_ci_u32_e64 v31, s1, s9, v32, s1
	v_mul_i32_i24_e32 v21, 0xffffffc8, v18
	s_delay_alu instid0(VALU_DEP_4)
	v_add_co_u32 v34, s1, s8, v34
	global_load_b128 v[30:33], v[30:31], off offset:128
	s_wait_alu 0xf1ff
	v_add_co_ci_u32_e64 v35, s1, s9, v35, s1
	v_add3_u32 v21, v28, v21, v26
	global_load_b128 v[34:37], v[34:35], off offset:128
	global_wb scope:SCOPE_SE
	s_wait_loadcnt_dscnt 0x0
	s_barrier_signal -1
	s_barrier_wait -1
	global_inv scope:SCOPE_SE
	v_mul_f32_e32 v26, v31, v9
	v_dual_mul_f32 v28, v31, v8 :: v_dual_mul_f32 v31, v33, v13
	v_mul_f32_e32 v33, v33, v12
	s_delay_alu instid0(VALU_DEP_3) | instskip(NEXT) | instid1(VALU_DEP_3)
	v_fma_f32 v8, v30, v8, -v26
	v_fmac_f32_e32 v28, v30, v9
	s_delay_alu instid0(VALU_DEP_4) | instskip(NEXT) | instid1(VALU_DEP_4)
	v_fma_f32 v9, v32, v12, -v31
	v_dual_mul_f32 v12, v35, v11 :: v_dual_fmac_f32 v33, v32, v13
	v_dual_mul_f32 v26, v35, v10 :: v_dual_mul_f32 v31, v37, v23
	v_mul_f32_e32 v30, v37, v24
	s_delay_alu instid0(VALU_DEP_3) | instskip(NEXT) | instid1(VALU_DEP_3)
	v_fma_f32 v10, v34, v10, -v12
	v_dual_fmac_f32 v26, v34, v11 :: v_dual_fmac_f32 v31, v36, v24
	v_add_f32_e32 v11, v8, v19
	s_delay_alu instid0(VALU_DEP_4) | instskip(SKIP_3) | instid1(VALU_DEP_1)
	v_fma_f32 v12, v36, v23, -v30
	v_sub_f32_e32 v23, v28, v33
	v_add_f32_e32 v24, v28, v20
	v_add_f32_e32 v28, v28, v33
	v_dual_add_f32 v13, v8, v9 :: v_dual_fmac_f32 v20, -0.5, v28
	s_delay_alu instid0(VALU_DEP_1)
	v_fma_f32 v19, -0.5, v13, v19
	v_sub_f32_e32 v30, v8, v9
	v_dual_add_f32 v8, v11, v9 :: v_dual_add_f32 v13, v6, v10
	v_dual_add_f32 v9, v24, v33 :: v_dual_sub_f32 v28, v26, v31
	v_add_f32_e32 v24, v10, v12
	v_sub_f32_e32 v33, v10, v12
	s_delay_alu instid0(VALU_DEP_4) | instskip(NEXT) | instid1(VALU_DEP_3)
	v_add_f32_e32 v12, v13, v12
	v_fma_f32 v6, -0.5, v24, v6
	v_add_f32_e32 v32, v7, v26
	v_add_f32_e32 v26, v26, v31
	v_fmamk_f32 v10, v23, 0x3f5db3d7, v19
	v_fmac_f32_e32 v19, 0xbf5db3d7, v23
	v_fmamk_f32 v11, v30, 0xbf5db3d7, v20
	v_fmac_f32_e32 v20, 0x3f5db3d7, v30
	v_fmac_f32_e32 v7, -0.5, v26
	v_fmamk_f32 v23, v28, 0x3f5db3d7, v6
	v_dual_add_f32 v13, v32, v31 :: v_dual_fmac_f32 v6, 0xbf5db3d7, v28
	s_delay_alu instid0(VALU_DEP_3)
	v_fmamk_f32 v24, v33, 0xbf5db3d7, v7
	v_fmac_f32_e32 v7, 0x3f5db3d7, v33
	ds_store_2addr_b64 v27, v[10:11], v[19:20] offset0:24 offset1:48
	ds_store_2addr_b64 v27, v[8:9], v[12:13] offset1:9
	ds_store_2addr_b32 v21, v23, v24 offset0:66 offset1:67
	ds_store_2addr_b32 v21, v6, v7 offset0:114 offset1:115
	s_and_saveexec_b32 s1, s0
	s_cbranch_execz .LBB0_26
; %bb.25:
	v_add_nc_u32_e32 v6, -6, v18
	s_delay_alu instid0(VALU_DEP_1) | instskip(NEXT) | instid1(VALU_DEP_1)
	v_cndmask_b32_e64 v6, v6, v29, s0
	v_lshlrev_b32_e32 v21, 1, v6
	s_delay_alu instid0(VALU_DEP_1) | instskip(NEXT) | instid1(VALU_DEP_1)
	v_lshlrev_b64_e32 v[6:7], 3, v[21:22]
	v_add_co_u32 v6, s0, s8, v6
	s_wait_alu 0xf1ff
	s_delay_alu instid0(VALU_DEP_2)
	v_add_co_ci_u32_e64 v7, s0, s9, v7, s0
	global_load_b128 v[6:9], v[6:7], off offset:128
	s_wait_loadcnt 0x0
	v_mul_f32_e32 v10, v0, v9
	v_mul_f32_e32 v11, v4, v7
	;; [unrolled: 1-line block ×3, first 2 shown]
	s_delay_alu instid0(VALU_DEP_1) | instskip(NEXT) | instid1(VALU_DEP_3)
	v_fma_f32 v0, v0, v8, -v9
	v_fmac_f32_e32 v11, v5, v6
	v_fmac_f32_e32 v10, v1, v8
	v_mul_f32_e32 v7, v5, v7
	s_delay_alu instid0(VALU_DEP_1) | instskip(NEXT) | instid1(VALU_DEP_1)
	v_fma_f32 v1, v4, v6, -v7
	v_dual_add_f32 v6, v1, v0 :: v_dual_add_f32 v7, v2, v1
	v_sub_f32_e32 v8, v1, v0
	s_delay_alu instid0(VALU_DEP_2) | instskip(NEXT) | instid1(VALU_DEP_3)
	v_fmac_f32_e32 v2, -0.5, v6
	v_add_f32_e32 v0, v7, v0
	v_add_f32_e32 v5, v3, v11
	v_sub_f32_e32 v9, v11, v10
	v_add_f32_e32 v4, v11, v10
	s_delay_alu instid0(VALU_DEP_3) | instskip(NEXT) | instid1(VALU_DEP_2)
	v_add_f32_e32 v1, v5, v10
	v_dual_fmac_f32 v3, -0.5, v4 :: v_dual_fmamk_f32 v4, v9, 0xbf5db3d7, v2
	s_delay_alu instid0(VALU_DEP_1)
	v_dual_fmac_f32 v2, 0x3f5db3d7, v9 :: v_dual_fmamk_f32 v5, v8, 0x3f5db3d7, v3
	v_fmac_f32_e32 v3, 0xbf5db3d7, v8
	ds_store_2addr_b64 v27, v[0:1], v[2:3] offset0:18 offset1:42
	ds_store_b64 v27, v[4:5] offset:528
.LBB0_26:
	s_wait_alu 0xfffe
	s_or_b32 exec_lo, exec_lo, s1
	global_wb scope:SCOPE_SE
	s_wait_dscnt 0x0
	s_barrier_signal -1
	s_barrier_wait -1
	global_inv scope:SCOPE_SE
	s_and_saveexec_b32 s0, vcc_lo
	s_cbranch_execz .LBB0_28
; %bb.27:
	v_mul_lo_u32 v2, s3, v16
	v_mul_lo_u32 v3, s2, v17
	v_mad_co_u64_u32 v[0:1], null, s2, v16, 0
	v_dual_mov_b32 v19, 0 :: v_dual_add_nc_u32 v6, 9, v18
	v_lshlrev_b64_e32 v[4:5], 3, v[14:15]
	v_add_nc_u32_e32 v8, 18, v18
	v_lshl_add_u32 v32, v18, 3, v25
	s_delay_alu instid0(VALU_DEP_4) | instskip(SKIP_4) | instid1(VALU_DEP_4)
	v_mov_b32_e32 v7, v19
	v_add3_u32 v1, v1, v3, v2
	v_lshlrev_b64_e32 v[12:13], 3, v[18:19]
	v_dual_mov_b32 v9, v19 :: v_dual_add_nc_u32 v28, 54, v18
	v_mov_b32_e32 v29, v19
	v_lshlrev_b64_e32 v[10:11], 3, v[0:1]
	v_lshlrev_b64_e32 v[6:7], 3, v[6:7]
	ds_load_2addr_b64 v[0:3], v32 offset1:9
	v_lshlrev_b64_e32 v[28:29], 3, v[28:29]
	v_add_co_u32 v10, vcc_lo, s6, v10
	s_wait_alu 0xfffd
	v_add_co_ci_u32_e32 v11, vcc_lo, s7, v11, vcc_lo
	s_delay_alu instid0(VALU_DEP_2) | instskip(SKIP_1) | instid1(VALU_DEP_2)
	v_add_co_u32 v33, vcc_lo, v10, v4
	s_wait_alu 0xfffd
	v_add_co_ci_u32_e32 v34, vcc_lo, v11, v5, vcc_lo
	v_add_nc_u32_e32 v10, 27, v18
	v_lshlrev_b64_e32 v[8:9], 3, v[8:9]
	v_add_co_u32 v16, vcc_lo, v33, v12
	s_wait_alu 0xfffd
	v_add_co_ci_u32_e32 v17, vcc_lo, v34, v13, vcc_lo
	v_add_co_u32 v20, vcc_lo, v33, v6
	v_mov_b32_e32 v11, v19
	s_wait_alu 0xfffd
	v_add_co_ci_u32_e32 v21, vcc_lo, v34, v7, vcc_lo
	v_add_co_u32 v22, vcc_lo, v33, v8
	s_wait_alu 0xfffd
	v_add_co_ci_u32_e32 v23, vcc_lo, v34, v9, vcc_lo
	v_lshlrev_b64_e32 v[8:9], 3, v[10:11]
	v_add_nc_u32_e32 v10, 36, v18
	v_dual_mov_b32 v13, v19 :: v_dual_add_nc_u32 v12, 45, v18
	ds_load_2addr_b64 v[4:7], v32 offset0:18 offset1:27
	v_add_nc_u32_e32 v18, 63, v18
	v_lshlrev_b64_e32 v[14:15], 3, v[10:11]
	v_add_co_u32 v24, vcc_lo, v33, v8
	s_wait_alu 0xfffd
	v_add_co_ci_u32_e32 v25, vcc_lo, v34, v9, vcc_lo
	ds_load_2addr_b64 v[8:11], v32 offset0:36 offset1:45
	v_add_co_u32 v30, vcc_lo, v33, v14
	v_lshlrev_b64_e32 v[26:27], 3, v[12:13]
	s_wait_alu 0xfffd
	v_add_co_ci_u32_e32 v31, vcc_lo, v34, v15, vcc_lo
	ds_load_2addr_b64 v[12:15], v32 offset0:54 offset1:63
	v_lshlrev_b64_e32 v[18:19], 3, v[18:19]
	v_add_co_u32 v26, vcc_lo, v33, v26
	s_wait_alu 0xfffd
	v_add_co_ci_u32_e32 v27, vcc_lo, v34, v27, vcc_lo
	v_add_co_u32 v28, vcc_lo, v33, v28
	s_wait_alu 0xfffd
	v_add_co_ci_u32_e32 v29, vcc_lo, v34, v29, vcc_lo
	;; [unrolled: 3-line block ×3, first 2 shown]
	s_wait_dscnt 0x3
	s_clause 0x1
	global_store_b64 v[16:17], v[0:1], off
	global_store_b64 v[20:21], v[2:3], off
	s_wait_dscnt 0x2
	s_clause 0x1
	global_store_b64 v[22:23], v[4:5], off
	global_store_b64 v[24:25], v[6:7], off
	;; [unrolled: 4-line block ×4, first 2 shown]
.LBB0_28:
	s_nop 0
	s_sendmsg sendmsg(MSG_DEALLOC_VGPRS)
	s_endpgm
	.section	.rodata,"a",@progbits
	.p2align	6, 0x0
	.amdhsa_kernel fft_rtc_fwd_len72_factors_8_3_3_wgs_63_tpt_9_halfLds_sp_op_CI_CI_unitstride_sbrr_C2R_dirReg
		.amdhsa_group_segment_fixed_size 0
		.amdhsa_private_segment_fixed_size 0
		.amdhsa_kernarg_size 104
		.amdhsa_user_sgpr_count 2
		.amdhsa_user_sgpr_dispatch_ptr 0
		.amdhsa_user_sgpr_queue_ptr 0
		.amdhsa_user_sgpr_kernarg_segment_ptr 1
		.amdhsa_user_sgpr_dispatch_id 0
		.amdhsa_user_sgpr_private_segment_size 0
		.amdhsa_wavefront_size32 1
		.amdhsa_uses_dynamic_stack 0
		.amdhsa_enable_private_segment 0
		.amdhsa_system_sgpr_workgroup_id_x 1
		.amdhsa_system_sgpr_workgroup_id_y 0
		.amdhsa_system_sgpr_workgroup_id_z 0
		.amdhsa_system_sgpr_workgroup_info 0
		.amdhsa_system_vgpr_workitem_id 0
		.amdhsa_next_free_vgpr 47
		.amdhsa_next_free_sgpr 39
		.amdhsa_reserve_vcc 1
		.amdhsa_float_round_mode_32 0
		.amdhsa_float_round_mode_16_64 0
		.amdhsa_float_denorm_mode_32 3
		.amdhsa_float_denorm_mode_16_64 3
		.amdhsa_fp16_overflow 0
		.amdhsa_workgroup_processor_mode 1
		.amdhsa_memory_ordered 1
		.amdhsa_forward_progress 0
		.amdhsa_round_robin_scheduling 0
		.amdhsa_exception_fp_ieee_invalid_op 0
		.amdhsa_exception_fp_denorm_src 0
		.amdhsa_exception_fp_ieee_div_zero 0
		.amdhsa_exception_fp_ieee_overflow 0
		.amdhsa_exception_fp_ieee_underflow 0
		.amdhsa_exception_fp_ieee_inexact 0
		.amdhsa_exception_int_div_zero 0
	.end_amdhsa_kernel
	.text
.Lfunc_end0:
	.size	fft_rtc_fwd_len72_factors_8_3_3_wgs_63_tpt_9_halfLds_sp_op_CI_CI_unitstride_sbrr_C2R_dirReg, .Lfunc_end0-fft_rtc_fwd_len72_factors_8_3_3_wgs_63_tpt_9_halfLds_sp_op_CI_CI_unitstride_sbrr_C2R_dirReg
                                        ; -- End function
	.section	.AMDGPU.csdata,"",@progbits
; Kernel info:
; codeLenInByte = 5172
; NumSgprs: 41
; NumVgprs: 47
; ScratchSize: 0
; MemoryBound: 0
; FloatMode: 240
; IeeeMode: 1
; LDSByteSize: 0 bytes/workgroup (compile time only)
; SGPRBlocks: 5
; VGPRBlocks: 5
; NumSGPRsForWavesPerEU: 41
; NumVGPRsForWavesPerEU: 47
; Occupancy: 16
; WaveLimiterHint : 1
; COMPUTE_PGM_RSRC2:SCRATCH_EN: 0
; COMPUTE_PGM_RSRC2:USER_SGPR: 2
; COMPUTE_PGM_RSRC2:TRAP_HANDLER: 0
; COMPUTE_PGM_RSRC2:TGID_X_EN: 1
; COMPUTE_PGM_RSRC2:TGID_Y_EN: 0
; COMPUTE_PGM_RSRC2:TGID_Z_EN: 0
; COMPUTE_PGM_RSRC2:TIDIG_COMP_CNT: 0
	.text
	.p2alignl 7, 3214868480
	.fill 96, 4, 3214868480
	.type	__hip_cuid_140865cbea48c9f6,@object ; @__hip_cuid_140865cbea48c9f6
	.section	.bss,"aw",@nobits
	.globl	__hip_cuid_140865cbea48c9f6
__hip_cuid_140865cbea48c9f6:
	.byte	0                               ; 0x0
	.size	__hip_cuid_140865cbea48c9f6, 1

	.ident	"AMD clang version 19.0.0git (https://github.com/RadeonOpenCompute/llvm-project roc-6.4.0 25133 c7fe45cf4b819c5991fe208aaa96edf142730f1d)"
	.section	".note.GNU-stack","",@progbits
	.addrsig
	.addrsig_sym __hip_cuid_140865cbea48c9f6
	.amdgpu_metadata
---
amdhsa.kernels:
  - .args:
      - .actual_access:  read_only
        .address_space:  global
        .offset:         0
        .size:           8
        .value_kind:     global_buffer
      - .offset:         8
        .size:           8
        .value_kind:     by_value
      - .actual_access:  read_only
        .address_space:  global
        .offset:         16
        .size:           8
        .value_kind:     global_buffer
      - .actual_access:  read_only
        .address_space:  global
        .offset:         24
        .size:           8
        .value_kind:     global_buffer
      - .actual_access:  read_only
        .address_space:  global
        .offset:         32
        .size:           8
        .value_kind:     global_buffer
      - .offset:         40
        .size:           8
        .value_kind:     by_value
      - .actual_access:  read_only
        .address_space:  global
        .offset:         48
        .size:           8
        .value_kind:     global_buffer
      - .actual_access:  read_only
        .address_space:  global
        .offset:         56
        .size:           8
        .value_kind:     global_buffer
      - .offset:         64
        .size:           4
        .value_kind:     by_value
      - .actual_access:  read_only
        .address_space:  global
        .offset:         72
        .size:           8
        .value_kind:     global_buffer
      - .actual_access:  read_only
        .address_space:  global
        .offset:         80
        .size:           8
        .value_kind:     global_buffer
      - .actual_access:  read_only
        .address_space:  global
        .offset:         88
        .size:           8
        .value_kind:     global_buffer
      - .actual_access:  write_only
        .address_space:  global
        .offset:         96
        .size:           8
        .value_kind:     global_buffer
    .group_segment_fixed_size: 0
    .kernarg_segment_align: 8
    .kernarg_segment_size: 104
    .language:       OpenCL C
    .language_version:
      - 2
      - 0
    .max_flat_workgroup_size: 63
    .name:           fft_rtc_fwd_len72_factors_8_3_3_wgs_63_tpt_9_halfLds_sp_op_CI_CI_unitstride_sbrr_C2R_dirReg
    .private_segment_fixed_size: 0
    .sgpr_count:     41
    .sgpr_spill_count: 0
    .symbol:         fft_rtc_fwd_len72_factors_8_3_3_wgs_63_tpt_9_halfLds_sp_op_CI_CI_unitstride_sbrr_C2R_dirReg.kd
    .uniform_work_group_size: 1
    .uses_dynamic_stack: false
    .vgpr_count:     47
    .vgpr_spill_count: 0
    .wavefront_size: 32
    .workgroup_processor_mode: 1
amdhsa.target:   amdgcn-amd-amdhsa--gfx1201
amdhsa.version:
  - 1
  - 2
...

	.end_amdgpu_metadata
